;; amdgpu-corpus repo=ROCm/rocFFT kind=compiled arch=gfx1030 opt=O3
	.text
	.amdgcn_target "amdgcn-amd-amdhsa--gfx1030"
	.amdhsa_code_object_version 6
	.protected	fft_rtc_back_len1404_factors_2_2_3_13_3_3_wgs_117_tpt_117_halfLds_sp_op_CI_CI_unitstride_sbrr_C2R_dirReg ; -- Begin function fft_rtc_back_len1404_factors_2_2_3_13_3_3_wgs_117_tpt_117_halfLds_sp_op_CI_CI_unitstride_sbrr_C2R_dirReg
	.globl	fft_rtc_back_len1404_factors_2_2_3_13_3_3_wgs_117_tpt_117_halfLds_sp_op_CI_CI_unitstride_sbrr_C2R_dirReg
	.p2align	8
	.type	fft_rtc_back_len1404_factors_2_2_3_13_3_3_wgs_117_tpt_117_halfLds_sp_op_CI_CI_unitstride_sbrr_C2R_dirReg,@function
fft_rtc_back_len1404_factors_2_2_3_13_3_3_wgs_117_tpt_117_halfLds_sp_op_CI_CI_unitstride_sbrr_C2R_dirReg: ; @fft_rtc_back_len1404_factors_2_2_3_13_3_3_wgs_117_tpt_117_halfLds_sp_op_CI_CI_unitstride_sbrr_C2R_dirReg
; %bb.0:
	s_clause 0x2
	s_load_dwordx4 s[12:15], s[4:5], 0x0
	s_load_dwordx4 s[8:11], s[4:5], 0x58
	;; [unrolled: 1-line block ×3, first 2 shown]
	v_mul_u32_u24_e32 v1, 0x231, v0
	v_mov_b32_e32 v3, 0
	v_add_nc_u32_sdwa v5, s6, v1 dst_sel:DWORD dst_unused:UNUSED_PAD src0_sel:DWORD src1_sel:WORD_1
	v_mov_b32_e32 v1, 0
	v_mov_b32_e32 v6, v3
	v_mov_b32_e32 v2, 0
	s_waitcnt lgkmcnt(0)
	v_cmp_lt_u64_e64 s0, s[14:15], 2
	s_and_b32 vcc_lo, exec_lo, s0
	s_cbranch_vccnz .LBB0_8
; %bb.1:
	s_load_dwordx2 s[0:1], s[4:5], 0x10
	v_mov_b32_e32 v1, 0
	v_mov_b32_e32 v2, 0
	s_add_u32 s2, s18, 8
	s_addc_u32 s3, s19, 0
	s_add_u32 s6, s16, 8
	s_addc_u32 s7, s17, 0
	v_mov_b32_e32 v25, v2
	v_mov_b32_e32 v24, v1
	s_mov_b64 s[22:23], 1
	s_waitcnt lgkmcnt(0)
	s_add_u32 s20, s0, 8
	s_addc_u32 s21, s1, 0
.LBB0_2:                                ; =>This Inner Loop Header: Depth=1
	s_load_dwordx2 s[24:25], s[20:21], 0x0
                                        ; implicit-def: $vgpr28_vgpr29
	s_mov_b32 s0, exec_lo
	s_waitcnt lgkmcnt(0)
	v_or_b32_e32 v4, s25, v6
	v_cmpx_ne_u64_e32 0, v[3:4]
	s_xor_b32 s1, exec_lo, s0
	s_cbranch_execz .LBB0_4
; %bb.3:                                ;   in Loop: Header=BB0_2 Depth=1
	v_cvt_f32_u32_e32 v4, s24
	v_cvt_f32_u32_e32 v7, s25
	s_sub_u32 s0, 0, s24
	s_subb_u32 s26, 0, s25
	v_fmac_f32_e32 v4, 0x4f800000, v7
	v_rcp_f32_e32 v4, v4
	v_mul_f32_e32 v4, 0x5f7ffffc, v4
	v_mul_f32_e32 v7, 0x2f800000, v4
	v_trunc_f32_e32 v7, v7
	v_fmac_f32_e32 v4, 0xcf800000, v7
	v_cvt_u32_f32_e32 v7, v7
	v_cvt_u32_f32_e32 v4, v4
	v_mul_lo_u32 v8, s0, v7
	v_mul_hi_u32 v9, s0, v4
	v_mul_lo_u32 v10, s26, v4
	v_add_nc_u32_e32 v8, v9, v8
	v_mul_lo_u32 v9, s0, v4
	v_add_nc_u32_e32 v8, v8, v10
	v_mul_hi_u32 v10, v4, v9
	v_mul_lo_u32 v11, v4, v8
	v_mul_hi_u32 v12, v4, v8
	v_mul_hi_u32 v13, v7, v9
	v_mul_lo_u32 v9, v7, v9
	v_mul_hi_u32 v14, v7, v8
	v_mul_lo_u32 v8, v7, v8
	v_add_co_u32 v10, vcc_lo, v10, v11
	v_add_co_ci_u32_e32 v11, vcc_lo, 0, v12, vcc_lo
	v_add_co_u32 v9, vcc_lo, v10, v9
	v_add_co_ci_u32_e32 v9, vcc_lo, v11, v13, vcc_lo
	v_add_co_ci_u32_e32 v10, vcc_lo, 0, v14, vcc_lo
	v_add_co_u32 v8, vcc_lo, v9, v8
	v_add_co_ci_u32_e32 v9, vcc_lo, 0, v10, vcc_lo
	v_add_co_u32 v4, vcc_lo, v4, v8
	v_add_co_ci_u32_e32 v7, vcc_lo, v7, v9, vcc_lo
	v_mul_hi_u32 v8, s0, v4
	v_mul_lo_u32 v10, s26, v4
	v_mul_lo_u32 v9, s0, v7
	v_add_nc_u32_e32 v8, v8, v9
	v_mul_lo_u32 v9, s0, v4
	v_add_nc_u32_e32 v8, v8, v10
	v_mul_hi_u32 v10, v4, v9
	v_mul_lo_u32 v11, v4, v8
	v_mul_hi_u32 v12, v4, v8
	v_mul_hi_u32 v13, v7, v9
	v_mul_lo_u32 v9, v7, v9
	v_mul_hi_u32 v14, v7, v8
	v_mul_lo_u32 v8, v7, v8
	v_add_co_u32 v10, vcc_lo, v10, v11
	v_add_co_ci_u32_e32 v11, vcc_lo, 0, v12, vcc_lo
	v_add_co_u32 v9, vcc_lo, v10, v9
	v_add_co_ci_u32_e32 v9, vcc_lo, v11, v13, vcc_lo
	v_add_co_ci_u32_e32 v10, vcc_lo, 0, v14, vcc_lo
	v_add_co_u32 v8, vcc_lo, v9, v8
	v_add_co_ci_u32_e32 v9, vcc_lo, 0, v10, vcc_lo
	v_add_co_u32 v4, vcc_lo, v4, v8
	v_add_co_ci_u32_e32 v11, vcc_lo, v7, v9, vcc_lo
	v_mul_hi_u32 v13, v5, v4
	v_mad_u64_u32 v[9:10], null, v6, v4, 0
	v_mad_u64_u32 v[7:8], null, v5, v11, 0
	;; [unrolled: 1-line block ×3, first 2 shown]
	v_add_co_u32 v4, vcc_lo, v13, v7
	v_add_co_ci_u32_e32 v7, vcc_lo, 0, v8, vcc_lo
	v_add_co_u32 v4, vcc_lo, v4, v9
	v_add_co_ci_u32_e32 v4, vcc_lo, v7, v10, vcc_lo
	v_add_co_ci_u32_e32 v7, vcc_lo, 0, v12, vcc_lo
	v_add_co_u32 v4, vcc_lo, v4, v11
	v_add_co_ci_u32_e32 v9, vcc_lo, 0, v7, vcc_lo
	v_mul_lo_u32 v10, s25, v4
	v_mad_u64_u32 v[7:8], null, s24, v4, 0
	v_mul_lo_u32 v11, s24, v9
	v_sub_co_u32 v7, vcc_lo, v5, v7
	v_add3_u32 v8, v8, v11, v10
	v_sub_nc_u32_e32 v10, v6, v8
	v_subrev_co_ci_u32_e64 v10, s0, s25, v10, vcc_lo
	v_add_co_u32 v11, s0, v4, 2
	v_add_co_ci_u32_e64 v12, s0, 0, v9, s0
	v_sub_co_u32 v13, s0, v7, s24
	v_sub_co_ci_u32_e32 v8, vcc_lo, v6, v8, vcc_lo
	v_subrev_co_ci_u32_e64 v10, s0, 0, v10, s0
	v_cmp_le_u32_e32 vcc_lo, s24, v13
	v_cmp_eq_u32_e64 s0, s25, v8
	v_cndmask_b32_e64 v13, 0, -1, vcc_lo
	v_cmp_le_u32_e32 vcc_lo, s25, v10
	v_cndmask_b32_e64 v14, 0, -1, vcc_lo
	v_cmp_le_u32_e32 vcc_lo, s24, v7
	;; [unrolled: 2-line block ×3, first 2 shown]
	v_cndmask_b32_e64 v15, 0, -1, vcc_lo
	v_cmp_eq_u32_e32 vcc_lo, s25, v10
	v_cndmask_b32_e64 v7, v15, v7, s0
	v_cndmask_b32_e32 v10, v14, v13, vcc_lo
	v_add_co_u32 v13, vcc_lo, v4, 1
	v_add_co_ci_u32_e32 v14, vcc_lo, 0, v9, vcc_lo
	v_cmp_ne_u32_e32 vcc_lo, 0, v10
	v_cndmask_b32_e32 v8, v14, v12, vcc_lo
	v_cndmask_b32_e32 v10, v13, v11, vcc_lo
	v_cmp_ne_u32_e32 vcc_lo, 0, v7
	v_cndmask_b32_e32 v29, v9, v8, vcc_lo
	v_cndmask_b32_e32 v28, v4, v10, vcc_lo
.LBB0_4:                                ;   in Loop: Header=BB0_2 Depth=1
	s_andn2_saveexec_b32 s0, s1
	s_cbranch_execz .LBB0_6
; %bb.5:                                ;   in Loop: Header=BB0_2 Depth=1
	v_cvt_f32_u32_e32 v4, s24
	s_sub_i32 s1, 0, s24
	v_mov_b32_e32 v29, v3
	v_rcp_iflag_f32_e32 v4, v4
	v_mul_f32_e32 v4, 0x4f7ffffe, v4
	v_cvt_u32_f32_e32 v4, v4
	v_mul_lo_u32 v7, s1, v4
	v_mul_hi_u32 v7, v4, v7
	v_add_nc_u32_e32 v4, v4, v7
	v_mul_hi_u32 v4, v5, v4
	v_mul_lo_u32 v7, v4, s24
	v_add_nc_u32_e32 v8, 1, v4
	v_sub_nc_u32_e32 v7, v5, v7
	v_subrev_nc_u32_e32 v9, s24, v7
	v_cmp_le_u32_e32 vcc_lo, s24, v7
	v_cndmask_b32_e32 v7, v7, v9, vcc_lo
	v_cndmask_b32_e32 v4, v4, v8, vcc_lo
	v_cmp_le_u32_e32 vcc_lo, s24, v7
	v_add_nc_u32_e32 v8, 1, v4
	v_cndmask_b32_e32 v28, v4, v8, vcc_lo
.LBB0_6:                                ;   in Loop: Header=BB0_2 Depth=1
	s_or_b32 exec_lo, exec_lo, s0
	v_mul_lo_u32 v4, v29, s24
	v_mul_lo_u32 v9, v28, s25
	s_load_dwordx2 s[0:1], s[6:7], 0x0
	v_mad_u64_u32 v[7:8], null, v28, s24, 0
	s_load_dwordx2 s[24:25], s[2:3], 0x0
	s_add_u32 s22, s22, 1
	s_addc_u32 s23, s23, 0
	s_add_u32 s2, s2, 8
	s_addc_u32 s3, s3, 0
	s_add_u32 s6, s6, 8
	v_add3_u32 v4, v8, v9, v4
	v_sub_co_u32 v5, vcc_lo, v5, v7
	s_addc_u32 s7, s7, 0
	s_add_u32 s20, s20, 8
	v_sub_co_ci_u32_e32 v4, vcc_lo, v6, v4, vcc_lo
	s_addc_u32 s21, s21, 0
	s_waitcnt lgkmcnt(0)
	v_mul_lo_u32 v6, s0, v4
	v_mul_lo_u32 v7, s1, v5
	v_mad_u64_u32 v[1:2], null, s0, v5, v[1:2]
	v_mul_lo_u32 v4, s24, v4
	v_mul_lo_u32 v8, s25, v5
	v_mad_u64_u32 v[24:25], null, s24, v5, v[24:25]
	v_cmp_ge_u64_e64 s0, s[22:23], s[14:15]
	v_add3_u32 v2, v7, v2, v6
	v_add3_u32 v25, v8, v25, v4
	s_and_b32 vcc_lo, exec_lo, s0
	s_cbranch_vccnz .LBB0_9
; %bb.7:                                ;   in Loop: Header=BB0_2 Depth=1
	v_mov_b32_e32 v5, v28
	v_mov_b32_e32 v6, v29
	s_branch .LBB0_2
.LBB0_8:
	v_mov_b32_e32 v25, v2
	v_mov_b32_e32 v29, v6
	;; [unrolled: 1-line block ×4, first 2 shown]
.LBB0_9:
	s_load_dwordx2 s[0:1], s[4:5], 0x28
	v_mul_hi_u32 v3, 0x2302303, v0
	s_lshl_b64 s[4:5], s[14:15], 3
                                        ; implicit-def: $vgpr26
	s_add_u32 s2, s18, s4
	s_addc_u32 s3, s19, s5
	s_waitcnt lgkmcnt(0)
	v_cmp_gt_u64_e32 vcc_lo, s[0:1], v[28:29]
	v_cmp_le_u64_e64 s0, s[0:1], v[28:29]
	s_and_saveexec_b32 s1, s0
	s_xor_b32 s0, exec_lo, s1
; %bb.10:
	v_mul_u32_u24_e32 v1, 0x75, v3
                                        ; implicit-def: $vgpr3
	v_sub_nc_u32_e32 v26, v0, v1
                                        ; implicit-def: $vgpr0
                                        ; implicit-def: $vgpr1_vgpr2
; %bb.11:
	s_or_saveexec_b32 s1, s0
	s_load_dwordx2 s[2:3], s[2:3], 0x0
	s_xor_b32 exec_lo, exec_lo, s1
	s_cbranch_execz .LBB0_15
; %bb.12:
	s_add_u32 s4, s16, s4
	s_addc_u32 s5, s17, s5
	v_lshlrev_b64 v[1:2], 3, v[1:2]
	s_load_dwordx2 s[4:5], s[4:5], 0x0
	s_waitcnt lgkmcnt(0)
	v_mul_lo_u32 v6, s5, v28
	v_mul_lo_u32 v7, s4, v29
	v_mad_u64_u32 v[4:5], null, s4, v28, 0
	s_mov_b32 s4, exec_lo
	v_add3_u32 v5, v5, v7, v6
	v_mul_u32_u24_e32 v6, 0x75, v3
	v_lshlrev_b64 v[3:4], 3, v[4:5]
	v_sub_nc_u32_e32 v26, v0, v6
	v_lshlrev_b32_e32 v27, 3, v26
	v_add_co_u32 v0, s0, s8, v3
	v_add_co_ci_u32_e64 v3, s0, s9, v4, s0
	v_add_co_u32 v0, s0, v0, v1
	v_add_co_ci_u32_e64 v1, s0, v3, v2, s0
	;; [unrolled: 2-line block ×3, first 2 shown]
	v_add_nc_u32_e32 v27, 0, v27
	v_add_co_u32 v4, s0, 0x800, v2
	v_add_co_ci_u32_e64 v5, s0, 0, v3, s0
	v_add_co_u32 v6, s0, 0x1000, v2
	v_add_co_ci_u32_e64 v7, s0, 0, v3, s0
	;; [unrolled: 2-line block ×5, first 2 shown]
	s_clause 0xb
	global_load_dwordx2 v[14:15], v[2:3], off
	global_load_dwordx2 v[16:17], v[2:3], off offset:936
	global_load_dwordx2 v[2:3], v[2:3], off offset:1872
	;; [unrolled: 1-line block ×11, first 2 shown]
	v_add_nc_u32_e32 v32, 0x400, v27
	v_add_nc_u32_e32 v33, 0xc00, v27
	;; [unrolled: 1-line block ×5, first 2 shown]
	s_waitcnt vmcnt(10)
	ds_write2_b64 v27, v[14:15], v[16:17] offset1:117
	s_waitcnt vmcnt(8)
	ds_write2_b64 v32, v[2:3], v[18:19] offset0:106 offset1:223
	s_waitcnt vmcnt(6)
	ds_write2_b64 v33, v[4:5], v[20:21] offset0:84 offset1:201
	;; [unrolled: 2-line block ×5, first 2 shown]
	v_cmpx_eq_u32_e32 0x74, v26
	s_cbranch_execz .LBB0_14
; %bb.13:
	v_add_co_u32 v0, s0, 0x2800, v0
	v_add_co_ci_u32_e64 v1, s0, 0, v1, s0
	v_mov_b32_e32 v2, 0
	v_mov_b32_e32 v26, 0x74
	global_load_dwordx2 v[0:1], v[0:1], off offset:992
	s_waitcnt vmcnt(0)
	ds_write_b64 v2, v[0:1] offset:11232
.LBB0_14:
	s_or_b32 exec_lo, exec_lo, s4
.LBB0_15:
	s_or_b32 exec_lo, exec_lo, s1
	v_lshlrev_b32_e32 v0, 3, v26
	s_waitcnt lgkmcnt(0)
	s_barrier
	buffer_gl0_inv
	s_add_u32 s1, s12, 0x2bd0
	v_add_nc_u32_e32 v39, 0, v0
	v_sub_nc_u32_e32 v4, 0, v0
	s_addc_u32 s4, s13, 0
	s_mov_b32 s5, exec_lo
                                        ; implicit-def: $vgpr2_vgpr3
	ds_read_b32 v5, v39
	ds_read_b32 v6, v4 offset:11232
	s_waitcnt lgkmcnt(0)
	v_add_f32_e32 v0, v6, v5
	v_sub_f32_e32 v1, v5, v6
	v_cmpx_ne_u32_e32 0, v26
	s_xor_b32 s5, exec_lo, s5
	s_cbranch_execz .LBB0_17
; %bb.16:
	v_mov_b32_e32 v27, 0
	v_add_f32_e32 v7, v6, v5
	v_sub_f32_e32 v8, v5, v6
	v_lshlrev_b64 v[0:1], 3, v[26:27]
	v_add_co_u32 v0, s0, s1, v0
	v_add_co_ci_u32_e64 v1, s0, s4, v1, s0
	global_load_dwordx2 v[2:3], v[0:1], off
	ds_read_b32 v0, v4 offset:11236
	ds_read_b32 v1, v39 offset:4
	s_waitcnt lgkmcnt(0)
	v_add_f32_e32 v9, v0, v1
	v_sub_f32_e32 v0, v1, v0
	s_waitcnt vmcnt(0)
	v_fma_f32 v5, -v8, v3, v7
	v_fma_f32 v6, v9, v3, -v0
	v_fma_f32 v10, v8, v3, v7
	v_fma_f32 v1, v9, v3, v0
	v_fmac_f32_e32 v5, v2, v9
	v_fmac_f32_e32 v6, v8, v2
	v_fma_f32 v0, -v2, v9, v10
	v_fmac_f32_e32 v1, v8, v2
	v_mov_b32_e32 v2, v26
	v_mov_b32_e32 v3, v27
	ds_write_b64 v4, v[5:6] offset:11232
.LBB0_17:
	s_andn2_saveexec_b32 s0, s5
	s_cbranch_execz .LBB0_19
; %bb.18:
	v_mov_b32_e32 v7, 0
	ds_read_b64 v[2:3], v7 offset:5616
	s_waitcnt lgkmcnt(0)
	v_add_f32_e32 v5, v2, v2
	v_mul_f32_e32 v6, -2.0, v3
	v_mov_b32_e32 v2, 0
	v_mov_b32_e32 v3, 0
	ds_write_b64 v7, v[5:6] offset:5616
.LBB0_19:
	s_or_b32 exec_lo, exec_lo, s0
	v_lshlrev_b64 v[2:3], 3, v[2:3]
	v_add_nc_u32_e32 v31, 0x400, v39
	v_add_nc_u32_e32 v37, 0xc00, v39
	;; [unrolled: 1-line block ×5, first 2 shown]
	v_add_co_u32 v2, s0, s1, v2
	v_add_co_ci_u32_e64 v3, s0, s4, v3, s0
	v_add_nc_u32_e32 v33, 0xea, v26
	v_add_co_u32 v9, s0, 0x800, v2
	s_clause 0x1
	global_load_dwordx2 v[5:6], v[2:3], off offset:936
	global_load_dwordx2 v[7:8], v[2:3], off offset:1872
	v_add_co_ci_u32_e64 v10, s0, 0, v3, s0
	v_add_co_u32 v2, s0, 0x1000, v2
	s_clause 0x1
	global_load_dwordx2 v[11:12], v[9:10], off offset:760
	global_load_dwordx2 v[9:10], v[9:10], off offset:1696
	v_add_co_ci_u32_e64 v3, s0, 0, v3, s0
	ds_write_b64 v39, v[0:1]
	v_add_nc_u32_e32 v23, 0x1d4, v26
	v_and_b32_e32 v50, 1, v26
	global_load_dwordx2 v[2:3], v[2:3], off offset:584
	ds_read_b64 v[0:1], v39 offset:936
	ds_read_b64 v[13:14], v4 offset:10296
	v_lshl_add_u32 v30, v26, 3, v39
	v_and_b32_e32 v51, 1, v38
	v_lshl_add_u32 v32, v35, 4, 0
	v_and_b32_e32 v52, 1, v27
	v_lshl_add_u32 v34, v33, 4, 0
	v_lshl_add_u32 v36, v27, 4, 0
	;; [unrolled: 1-line block ×3, first 2 shown]
	v_lshlrev_b32_e32 v46, 3, v50
	v_lshl_add_u32 v45, v38, 4, 0
	v_lshlrev_b32_e32 v53, 3, v51
	v_lshlrev_b32_e32 v48, 3, v52
	v_and_b32_e32 v55, 3, v26
	v_and_b32_e32 v56, 3, v33
	v_cmp_gt_u32_e64 s0, 0x6c, v26
	s_waitcnt lgkmcnt(0)
	v_add_f32_e32 v15, v0, v13
	v_add_f32_e32 v16, v14, v1
	v_sub_f32_e32 v17, v0, v13
	v_sub_f32_e32 v0, v1, v14
	s_waitcnt vmcnt(4)
	v_fma_f32 v18, v17, v6, v15
	v_fma_f32 v1, v16, v6, v0
	v_fma_f32 v13, -v17, v6, v15
	v_fma_f32 v14, v16, v6, -v0
	v_fma_f32 v0, -v5, v16, v18
	v_fmac_f32_e32 v1, v17, v5
	v_fmac_f32_e32 v13, v5, v16
	v_fmac_f32_e32 v14, v17, v5
	ds_write_b64 v39, v[0:1] offset:936
	ds_write_b64 v4, v[13:14] offset:10296
	ds_read_b64 v[0:1], v39 offset:1872
	ds_read_b64 v[5:6], v4 offset:9360
	s_waitcnt lgkmcnt(0)
	v_add_f32_e32 v13, v0, v5
	v_add_f32_e32 v14, v6, v1
	v_sub_f32_e32 v15, v0, v5
	v_sub_f32_e32 v0, v1, v6
	s_waitcnt vmcnt(3)
	v_fma_f32 v16, v15, v8, v13
	v_fma_f32 v1, v14, v8, v0
	v_fma_f32 v5, -v15, v8, v13
	v_fma_f32 v6, v14, v8, -v0
	v_fma_f32 v0, -v7, v14, v16
	v_fmac_f32_e32 v1, v15, v7
	v_fmac_f32_e32 v5, v7, v14
	v_fmac_f32_e32 v6, v15, v7
	ds_write_b64 v39, v[0:1] offset:1872
	ds_write_b64 v4, v[5:6] offset:9360
	ds_read_b64 v[0:1], v39 offset:2808
	ds_read_b64 v[5:6], v4 offset:8424
	;; [unrolled: 18-line block ×4, first 2 shown]
	s_waitcnt lgkmcnt(0)
	v_add_f32_e32 v7, v0, v5
	v_add_f32_e32 v9, v6, v1
	v_sub_f32_e32 v10, v0, v5
	v_sub_f32_e32 v1, v1, v6
	v_add_nc_u32_e32 v0, 0x1400, v39
	s_waitcnt vmcnt(0)
	v_fma_f32 v5, v10, v3, v7
	v_fma_f32 v6, v9, v3, v1
	v_fma_f32 v7, -v10, v3, v7
	v_fma_f32 v8, v9, v3, -v1
	v_add_nc_u32_e32 v1, 0x2400, v39
	v_fma_f32 v5, -v2, v9, v5
	v_fmac_f32_e32 v6, v10, v2
	v_fmac_f32_e32 v7, v2, v9
	v_fmac_f32_e32 v8, v10, v2
	v_add_nc_u32_e32 v2, 0x1c00, v39
	ds_write_b64 v39, v[5:6] offset:4680
	ds_write_b64 v4, v[7:8] offset:6552
	s_waitcnt lgkmcnt(0)
	s_barrier
	buffer_gl0_inv
	s_barrier
	buffer_gl0_inv
	ds_read2_b64 v[3:6], v39 offset1:117
	ds_read2_b64 v[7:10], v0 offset0:62 offset1:179
	ds_read2_b64 v[11:14], v31 offset0:106 offset1:223
	;; [unrolled: 1-line block ×5, first 2 shown]
	s_waitcnt lgkmcnt(0)
	s_barrier
	buffer_gl0_inv
	v_sub_f32_e32 v7, v3, v7
	v_sub_f32_e32 v8, v4, v8
	;; [unrolled: 1-line block ×12, first 2 shown]
	v_fma_f32 v3, v3, 2.0, -v7
	v_fma_f32 v4, v4, 2.0, -v8
	v_fma_f32 v5, v5, 2.0, -v9
	v_fma_f32 v6, v6, 2.0, -v10
	v_fma_f32 v11, v11, 2.0, -v15
	v_fma_f32 v12, v12, 2.0, -v16
	v_fma_f32 v13, v13, 2.0, -v17
	v_fma_f32 v14, v14, 2.0, -v18
	v_fma_f32 v19, v19, 2.0, -v40
	v_fma_f32 v20, v20, 2.0, -v41
	v_fma_f32 v21, v21, 2.0, -v42
	v_fma_f32 v22, v22, 2.0, -v43
	ds_write2_b64 v30, v[3:4], v[7:8] offset1:1
	ds_write2_b64 v32, v[5:6], v[9:10] offset1:1
	;; [unrolled: 1-line block ×6, first 2 shown]
	v_and_b32_e32 v7, 1, v35
	s_waitcnt lgkmcnt(0)
	s_barrier
	buffer_gl0_inv
	s_clause 0x1
	global_load_dwordx2 v[44:45], v46, s[12:13]
	global_load_dwordx2 v[46:47], v53, s[12:13]
	v_lshlrev_b32_e32 v3, 3, v7
	s_clause 0x2
	global_load_dwordx2 v[48:49], v48, s[12:13]
	global_load_dword v53, v53, s[12:13] offset:4
	global_load_dword v54, v3, s[12:13]
	v_lshlrev_b32_e32 v30, 1, v26
	v_lshlrev_b32_e32 v34, 1, v35
	;; [unrolled: 1-line block ×5, first 2 shown]
	v_and_or_b32 v3, 0xfc, v30, v50
	v_lshlrev_b32_e32 v36, 1, v27
	v_and_or_b32 v15, 0x1fc, v34, v7
	ds_read2_b64 v[7:10], v2 offset0:40 offset1:157
	v_and_or_b32 v18, 0x7fc, v11, v50
	v_lshl_add_u32 v57, v3, 3, 0
	ds_read2_b64 v[3:6], v0 offset0:62 offset1:179
	v_and_or_b32 v19, 0x5fc, v12, v51
	ds_read2_b64 v[11:14], v1 offset0:18 offset1:135
	v_and_or_b32 v16, 0x3fc, v32, v50
	v_and_or_b32 v17, 0x3fc, v36, v52
	v_lshl_add_u32 v51, v15, 3, 0
	v_lshl_add_u32 v59, v18, 3, 0
	;; [unrolled: 1-line block ×5, first 2 shown]
	ds_read2_b64 v[15:18], v39 offset1:117
	ds_read2_b64 v[19:22], v31 offset0:106 offset1:223
	ds_read2_b64 v[40:43], v37 offset0:84 offset1:201
	v_and_b32_e32 v38, 3, v35
	s_waitcnt vmcnt(0) lgkmcnt(0)
	s_barrier
	buffer_gl0_inv
	v_lshlrev_b32_e32 v23, 4, v55
	v_lshlrev_b32_e32 v50, 4, v38
	v_mul_f32_e32 v61, v45, v4
	v_mul_f32_e32 v62, v45, v3
	;; [unrolled: 1-line block ×12, first 2 shown]
	v_fmac_f32_e32 v61, v44, v3
	v_fma_f32 v4, v44, v4, -v62
	v_fmac_f32_e32 v63, v54, v5
	v_fma_f32 v6, v54, v6, -v47
	;; [unrolled: 2-line block ×6, first 2 shown]
	v_sub_f32_e32 v3, v15, v61
	v_sub_f32_e32 v4, v16, v4
	;; [unrolled: 1-line block ×12, first 2 shown]
	v_fma_f32 v15, v15, 2.0, -v3
	v_fma_f32 v16, v16, 2.0, -v4
	;; [unrolled: 1-line block ×12, first 2 shown]
	ds_write2_b64 v57, v[15:16], v[3:4] offset1:2
	ds_write2_b64 v51, v[17:18], v[5:6] offset1:2
	;; [unrolled: 1-line block ×6, first 2 shown]
	v_and_b32_e32 v3, 3, v27
	v_lshlrev_b32_e32 v4, 4, v56
	s_waitcnt lgkmcnt(0)
	s_barrier
	buffer_gl0_inv
	v_lshlrev_b32_e32 v5, 4, v3
	s_clause 0x3
	global_load_dwordx4 v[12:15], v23, s[12:13] offset:16
	global_load_dwordx4 v[16:19], v50, s[12:13] offset:16
	;; [unrolled: 1-line block ×4, first 2 shown]
	v_lshrrev_b32_e32 v4, 2, v26
	v_lshrrev_b32_e32 v7, 2, v27
	;; [unrolled: 1-line block ×4, first 2 shown]
	ds_read2_b64 v[48:51], v2 offset0:40 offset1:157
	v_mul_u32_u24_e32 v4, 12, v4
	v_mul_u32_u24_e32 v2, 12, v7
	;; [unrolled: 1-line block ×3, first 2 shown]
	ds_read2_b64 v[44:47], v37 offset0:84 offset1:201
	v_mul_u32_u24_e32 v6, 12, v6
	v_or_b32_e32 v4, v4, v55
	ds_read2_b64 v[52:55], v0 offset0:62 offset1:179
	v_or_b32_e32 v7, v2, v3
	ds_read2_b64 v[0:3], v1 offset0:18 offset1:135
	v_or_b32_e32 v5, v5, v38
	v_or_b32_e32 v6, v6, v56
	v_lshl_add_u32 v38, v4, 3, 0
	v_lshl_add_u32 v58, v7, 3, 0
	;; [unrolled: 1-line block ×4, first 2 shown]
	ds_read2_b64 v[4:7], v39 offset1:117
	ds_read2_b64 v[8:11], v31 offset0:106 offset1:223
	s_waitcnt vmcnt(0) lgkmcnt(0)
	s_barrier
	buffer_gl0_inv
	v_mul_f32_e32 v59, v13, v45
	v_mul_f32_e32 v13, v13, v44
	;; [unrolled: 1-line block ×16, first 2 shown]
	v_fmac_f32_e32 v59, v12, v44
	v_fma_f32 v12, v12, v45, -v13
	v_fmac_f32_e32 v60, v14, v48
	v_fma_f32 v13, v14, v49, -v15
	;; [unrolled: 2-line block ×8, first 2 shown]
	v_add_f32_e32 v1, v4, v59
	v_add_f32_e32 v3, v59, v60
	v_sub_f32_e32 v40, v12, v13
	v_add_f32_e32 v17, v5, v12
	v_add_f32_e32 v12, v12, v13
	;; [unrolled: 1-line block ×3, first 2 shown]
	v_sub_f32_e32 v42, v14, v15
	v_add_f32_e32 v21, v7, v14
	v_add_f32_e32 v14, v14, v15
	v_add_f32_e32 v23, v63, v64
	v_add_f32_e32 v45, v9, v16
	v_add_f32_e32 v46, v16, v20
	v_add_f32_e32 v49, v65, v66
	v_add_f32_e32 v52, v0, v2
	v_sub_f32_e32 v41, v59, v60
	v_add_f32_e32 v18, v6, v61
	v_sub_f32_e32 v43, v61, v62
	v_add_f32_e32 v22, v8, v63
	v_sub_f32_e32 v44, v16, v20
	v_sub_f32_e32 v47, v63, v64
	v_add_f32_e32 v48, v10, v65
	v_sub_f32_e32 v50, v0, v2
	v_add_f32_e32 v51, v11, v0
	;; [unrolled: 2-line block ×3, first 2 shown]
	v_add_f32_e32 v1, v17, v13
	v_fma_f32 v16, -0.5, v3, v4
	v_fma_f32 v17, -0.5, v12, v5
	;; [unrolled: 1-line block ×3, first 2 shown]
	v_add_f32_e32 v19, v21, v15
	v_fmac_f32_e32 v7, -0.5, v14
	v_add_f32_e32 v13, v45, v20
	v_fma_f32 v20, -0.5, v23, v8
	v_fma_f32 v21, -0.5, v46, v9
	;; [unrolled: 1-line block ×3, first 2 shown]
	v_fmac_f32_e32 v11, -0.5, v52
	v_add_f32_e32 v18, v18, v62
	v_add_f32_e32 v12, v22, v64
	;; [unrolled: 1-line block ×4, first 2 shown]
	v_fmamk_f32 v2, v40, 0xbf5db3d7, v16
	v_fmac_f32_e32 v16, 0x3f5db3d7, v40
	v_fmamk_f32 v3, v41, 0x3f5db3d7, v17
	v_fmac_f32_e32 v17, 0xbf5db3d7, v41
	v_fmamk_f32 v4, v42, 0xbf5db3d7, v6
	v_fmac_f32_e32 v6, 0x3f5db3d7, v42
	v_fmamk_f32 v5, v43, 0x3f5db3d7, v7
	v_fmac_f32_e32 v7, 0xbf5db3d7, v43
	v_fmamk_f32 v14, v44, 0xbf5db3d7, v20
	v_fmac_f32_e32 v20, 0x3f5db3d7, v44
	v_fmamk_f32 v15, v47, 0x3f5db3d7, v21
	v_fmac_f32_e32 v21, 0xbf5db3d7, v47
	v_fmamk_f32 v8, v50, 0xbf5db3d7, v10
	v_fmac_f32_e32 v10, 0x3f5db3d7, v50
	v_fmamk_f32 v9, v53, 0x3f5db3d7, v11
	v_fmac_f32_e32 v11, 0xbf5db3d7, v53
	ds_write2_b64 v38, v[0:1], v[2:3] offset1:4
	ds_write_b64 v38, v[16:17] offset:64
	ds_write2_b64 v56, v[18:19], v[4:5] offset1:4
	ds_write_b64 v56, v[6:7] offset:64
	;; [unrolled: 2-line block ×4, first 2 shown]
	s_waitcnt lgkmcnt(0)
	s_barrier
	buffer_gl0_inv
                                        ; implicit-def: $vgpr38
	s_and_saveexec_b32 s1, s0
	s_cbranch_execz .LBB0_21
; %bb.20:
	v_add_nc_u32_e32 v8, 0x1000, v39
	v_add_nc_u32_e32 v9, 0x1800, v39
	;; [unrolled: 1-line block ×3, first 2 shown]
	ds_read2_b64 v[0:3], v39 offset1:108
	ds_read2_b64 v[16:19], v31 offset0:88 offset1:196
	ds_read2_b64 v[4:7], v37 offset0:48 offset1:156
	;; [unrolled: 1-line block ×5, first 2 shown]
	ds_read_b64 v[37:38], v39 offset:10368
.LBB0_21:
	s_or_b32 exec_lo, exec_lo, s1
	s_waitcnt lgkmcnt(0)
	s_barrier
	buffer_gl0_inv
	s_and_saveexec_b32 s1, s0
	s_cbranch_execz .LBB0_23
; %bb.22:
	v_and_b32_e32 v31, 0xff, v26
	v_mov_b32_e32 v41, 12
	v_mul_lo_u16 v31, 0xab, v31
	v_lshrrev_b16 v31, 11, v31
	v_mul_lo_u16 v40, v31, 12
	v_sub_nc_u16 v40, v26, v40
	v_mul_u32_u24_sdwa v41, v40, v41 dst_sel:DWORD dst_unused:UNUSED_PAD src0_sel:BYTE_0 src1_sel:DWORD
	v_lshlrev_b32_e32 v41, 3, v41
	s_clause 0x5
	global_load_dwordx4 v[52:55], v41, s[12:13] offset:80
	global_load_dwordx4 v[56:59], v41, s[12:13] offset:160
	;; [unrolled: 1-line block ×6, first 2 shown]
	s_waitcnt vmcnt(5)
	v_mul_f32_e32 v60, v3, v53
	s_waitcnt vmcnt(4)
	v_mul_f32_e32 v41, v38, v59
	v_mul_f32_e32 v51, v2, v53
	v_mul_f32_e32 v48, v37, v59
	v_mul_f32_e32 v42, v11, v57
	v_mul_f32_e32 v57, v10, v57
	v_mul_f32_e32 v59, v17, v55
	v_mul_f32_e32 v55, v16, v55
	s_waitcnt vmcnt(2)
	v_mul_f32_e32 v43, v9, v68
	v_mul_f32_e32 v68, v8, v68
	s_waitcnt vmcnt(1)
	v_mul_f32_e32 v49, v7, v71
	v_mul_f32_e32 v71, v6, v71
	v_fmac_f32_e32 v41, v37, v58
	v_fmac_f32_e32 v60, v2, v52
	v_fma_f32 v78, v3, v52, -v51
	v_mul_f32_e32 v50, v19, v62
	v_mul_f32_e32 v62, v18, v62
	;; [unrolled: 1-line block ×6, first 2 shown]
	s_waitcnt vmcnt(0)
	v_mul_f32_e32 v46, v15, v75
	v_mul_f32_e32 v75, v14, v75
	;; [unrolled: 1-line block ×3, first 2 shown]
	v_fma_f32 v37, v38, v58, -v48
	v_fmac_f32_e32 v42, v10, v56
	v_fma_f32 v38, v11, v56, -v57
	v_fmac_f32_e32 v59, v16, v54
	v_fma_f32 v69, v17, v54, -v55
	v_fma_f32 v16, v9, v67, -v68
	;; [unrolled: 1-line block ×3, first 2 shown]
	v_sub_f32_e32 v9, v60, v41
	v_add_f32_e32 v71, v1, v78
	v_mul_f32_e32 v64, v4, v64
	v_fma_f32 v56, v19, v61, -v62
	v_fmac_f32_e32 v53, v4, v63
	v_fmac_f32_e32 v44, v22, v65
	v_fma_f32 v17, v23, v65, -v66
	v_fmac_f32_e32 v47, v12, v72
	v_fmac_f32_e32 v46, v14, v74
	v_fma_f32 v14, v15, v74, -v75
	v_fma_f32 v15, v13, v72, -v73
	v_add_f32_e32 v58, v78, v37
	v_sub_f32_e32 v4, v59, v42
	v_add_f32_e32 v57, v69, v38
	v_sub_f32_e32 v62, v78, v37
	v_sub_f32_e32 v65, v69, v38
	v_add_f32_e32 v72, v0, v60
	v_mul_f32_e32 v73, 0xbf7e222b, v9
	v_mul_f32_e32 v83, 0xbf29c268, v9
	v_add_f32_e32 v69, v71, v69
	v_mul_f32_e32 v45, v21, v77
	v_mul_f32_e32 v77, v20, v77
	v_fmac_f32_e32 v43, v8, v67
	v_fmac_f32_e32 v50, v18, v61
	v_fma_f32 v55, v5, v63, -v64
	v_add_f32_e32 v52, v56, v16
	v_add_f32_e32 v8, v60, v41
	v_sub_f32_e32 v54, v56, v16
	v_mul_f32_e32 v74, 0xbf7e222b, v62
	v_mul_f32_e32 v75, 0xbe750f2a, v4
	;; [unrolled: 1-line block ×5, first 2 shown]
	v_add_f32_e32 v71, v72, v59
	v_fmamk_f32 v113, v58, 0x3df6dbef, v73
	v_fmamk_f32 v115, v58, 0xbf3f9e67, v83
	v_add_f32_e32 v56, v69, v56
	v_fmac_f32_e32 v45, v20, v76
	v_fma_f32 v18, v21, v76, -v77
	v_sub_f32_e32 v3, v50, v43
	v_add_f32_e32 v19, v55, v17
	v_add_f32_e32 v7, v59, v42
	;; [unrolled: 1-line block ×3, first 2 shown]
	v_sub_f32_e32 v20, v55, v17
	v_mul_f32_e32 v77, 0xbe750f2a, v65
	v_mul_f32_e32 v86, 0x3f7e222b, v65
	;; [unrolled: 1-line block ×7, first 2 shown]
	v_fma_f32 v114, 0x3df6dbef, v8, -v74
	v_fma_f32 v83, 0xbf3f9e67, v58, -v83
	;; [unrolled: 1-line block ×3, first 2 shown]
	v_fmamk_f32 v73, v57, 0xbf788fa5, v75
	v_fmamk_f32 v69, v57, 0x3df6dbef, v84
	v_add_f32_e32 v50, v71, v50
	v_fma_f32 v71, 0xbf3f9e67, v8, -v85
	v_add_f32_e32 v55, v56, v55
	v_add_f32_e32 v56, v1, v113
	v_fmamk_f32 v113, v9, 0x3e750f2a, v93
	v_add_f32_e32 v115, v1, v115
	v_fmac_f32_e32 v49, v6, v70
	v_sub_f32_e32 v2, v53, v44
	v_add_f32_e32 v6, v53, v44
	v_mul_f32_e32 v96, 0x3eedf032, v65
	v_mul_f32_e32 v104, 0xbf3f9e67, v57
	;; [unrolled: 1-line block ×5, first 2 shown]
	v_fma_f32 v84, 0x3df6dbef, v57, -v84
	v_fma_f32 v57, 0xbf788fa5, v57, -v75
	;; [unrolled: 1-line block ×4, first 2 shown]
	v_add_f32_e32 v114, v0, v114
	v_add_f32_e32 v50, v50, v53
	v_fmamk_f32 v53, v4, 0xbeedf032, v94
	v_add_f32_e32 v56, v73, v56
	v_fmamk_f32 v73, v8, 0xbf788fa5, v95
	v_add_f32_e32 v71, v0, v71
	v_add_f32_e32 v113, v1, v113
	;; [unrolled: 1-line block ×3, first 2 shown]
	v_fmamk_f32 v115, v9, 0x3f6f5d39, v103
	v_mul_f32_e32 v106, 0x3f29c268, v65
	v_mul_f32_e32 v64, 0xbf52af12, v62
	v_add_f32_e32 v75, v75, v114
	v_fmamk_f32 v114, v7, 0x3f62ad3f, v96
	v_add_f32_e32 v73, v0, v73
	v_add_f32_e32 v71, v116, v71
	v_fmamk_f32 v116, v4, 0xbf29c268, v104
	v_add_f32_e32 v53, v53, v113
	v_fmamk_f32 v113, v8, 0xbeb58ec6, v105
	v_add_f32_e32 v115, v1, v115
	v_mul_f32_e32 v63, 0xbf6f5d39, v65
	v_add_f32_e32 v73, v114, v73
	v_fmamk_f32 v114, v7, 0xbf3f9e67, v106
	v_fmac_f32_e32 v74, 0x3df6dbef, v8
	v_add_f32_e32 v113, v0, v113
	v_add_f32_e32 v58, v1, v58
	;; [unrolled: 1-line block ×3, first 2 shown]
	v_fmamk_f32 v116, v8, 0x3f116cb1, v64
	v_mul_f32_e32 v62, 0xbeedf032, v62
	v_fmac_f32_e32 v77, 0xbf788fa5, v7
	v_add_f32_e32 v113, v114, v113
	v_fmamk_f32 v114, v9, 0x3eedf032, v61
	v_add_f32_e32 v74, v0, v74
	v_add_f32_e32 v57, v57, v58
	v_fmamk_f32 v58, v7, 0xbeb58ec6, v63
	v_add_f32_e32 v116, v0, v116
	v_fmac_f32_e32 v93, 0xbe750f2a, v9
	v_fma_f32 v95, 0xbf788fa5, v8, -v95
	v_mul_f32_e32 v76, 0x3f6f5d39, v3
	v_mul_f32_e32 v59, 0xbf52af12, v65
	v_add_f32_e32 v74, v77, v74
	v_fmamk_f32 v77, v4, 0x3f52af12, v60
	v_add_f32_e32 v114, v1, v114
	v_add_f32_e32 v58, v58, v116
	v_fmamk_f32 v116, v8, 0x3f62ad3f, v62
	v_fmac_f32_e32 v94, 0x3eedf032, v4
	v_add_f32_e32 v93, v1, v93
	v_fma_f32 v96, 0x3f62ad3f, v7, -v96
	v_add_f32_e32 v95, v0, v95
	v_fma_f32 v105, 0xbeb58ec6, v8, -v105
	v_mul_f32_e32 v78, 0x3f6f5d39, v54
	v_mul_f32_e32 v87, 0xbf52af12, v3
	v_fmac_f32_e32 v85, 0xbf3f9e67, v8
	v_add_f32_e32 v83, v1, v83
	v_add_f32_e32 v77, v77, v114
	v_fmamk_f32 v114, v7, 0x3f116cb1, v59
	v_add_f32_e32 v116, v0, v116
	v_add_f32_e32 v93, v94, v93
	v_mul_f32_e32 v94, 0xbe750f2a, v54
	v_add_f32_e32 v95, v96, v95
	v_fmamk_f32 v96, v52, 0xbeb58ec6, v76
	v_fma_f32 v76, 0xbeb58ec6, v52, -v76
	v_fma_f32 v106, 0xbf3f9e67, v7, -v106
	v_add_f32_e32 v105, v0, v105
	v_sub_f32_e32 v10, v49, v45
	v_add_f32_e32 v23, v51, v18
	v_sub_f32_e32 v48, v51, v18
	v_mul_f32_e32 v88, 0xbf52af12, v54
	v_mul_f32_e32 v97, 0xbf3f9e67, v52
	;; [unrolled: 1-line block ×5, first 2 shown]
	v_fmac_f32_e32 v86, 0x3df6dbef, v7
	v_add_f32_e32 v85, v0, v85
	v_add_f32_e32 v83, v84, v83
	v_fmamk_f32 v84, v9, 0x3f52af12, v107
	v_add_f32_e32 v114, v114, v116
	v_mul_f32_e32 v116, 0xbf788fa5, v52
	v_add_f32_e32 v51, v55, v51
	v_fmamk_f32 v55, v52, 0x3f116cb1, v87
	v_fma_f32 v87, 0x3f116cb1, v52, -v87
	v_mul_f32_e32 v52, 0x3df6dbef, v52
	v_mul_f32_e32 v54, 0xbf7e222b, v54
	v_fmac_f32_e32 v103, 0xbf6f5d39, v9
	v_fmac_f32_e32 v107, 0xbf52af12, v9
	v_add_f32_e32 v105, v106, v105
	v_fma_f32 v106, 0xbeb58ec6, v5, -v78
	v_fmac_f32_e32 v78, 0xbeb58ec6, v5
	v_add_f32_e32 v57, v76, v57
	v_fmamk_f32 v76, v5, 0xbf788fa5, v94
	v_sub_f32_e32 v11, v47, v46
	v_sub_f32_e32 v22, v15, v14
	v_mul_f32_e32 v79, 0x3eedf032, v2
	v_mul_f32_e32 v81, 0xbf52af12, v10
	;; [unrolled: 1-line block ×5, first 2 shown]
	v_add_f32_e32 v85, v86, v85
	v_fmamk_f32 v86, v4, 0x3f6f5d39, v108
	v_add_f32_e32 v84, v1, v84
	v_fmac_f32_e32 v104, 0x3f29c268, v4
	v_add_f32_e32 v103, v1, v103
	v_fmac_f32_e32 v108, 0xbf6f5d39, v4
	v_add_f32_e32 v107, v1, v107
	v_add_f32_e32 v56, v96, v56
	v_fma_f32 v96, 0x3f116cb1, v5, -v88
	v_add_f32_e32 v75, v106, v75
	v_fmamk_f32 v106, v3, 0x3f29c268, v97
	v_add_f32_e32 v55, v55, v69
	v_fmamk_f32 v69, v5, 0xbf3f9e67, v98
	v_fmac_f32_e32 v88, 0x3f116cb1, v5
	v_add_f32_e32 v83, v87, v83
	v_fmamk_f32 v87, v5, 0x3f62ad3f, v110
	v_add_f32_e32 v74, v78, v74
	v_fmamk_f32 v78, v3, 0x3f7e222b, v52
	;; [unrolled: 2-line block ×3, first 2 shown]
	v_fmac_f32_e32 v97, 0xbf29c268, v3
	v_fma_f32 v98, 0xbf3f9e67, v5, -v98
	v_add_f32_e32 v12, v49, v45
	v_add_f32_e32 v21, v15, v14
	v_mul_f32_e32 v80, 0x3eedf032, v20
	v_mul_f32_e32 v82, 0xbf29c268, v11
	;; [unrolled: 1-line block ×11, first 2 shown]
	v_add_f32_e32 v84, v86, v84
	v_mul_f32_e32 v86, 0xbf788fa5, v23
	v_add_f32_e32 v49, v50, v49
	v_add_f32_e32 v103, v104, v103
	;; [unrolled: 1-line block ×3, first 2 shown]
	v_mul_f32_e32 v108, 0x3f52af12, v22
	v_add_f32_e32 v71, v96, v71
	v_mul_f32_e32 v96, 0xbf3f9e67, v19
	v_add_f32_e32 v53, v106, v53
	;; [unrolled: 2-line block ×3, first 2 shown]
	v_fmamk_f32 v73, v3, 0xbeedf032, v109
	v_add_f32_e32 v85, v88, v85
	v_mul_f32_e32 v88, 0x3df6dbef, v23
	v_add_f32_e32 v87, v87, v113
	v_fmamk_f32 v113, v3, 0x3e750f2a, v116
	v_add_f32_e32 v77, v78, v77
	v_mul_f32_e32 v78, 0x3eedf032, v22
	v_add_f32_e32 v76, v76, v114
	v_fmamk_f32 v114, v19, 0x3f62ad3f, v79
	v_add_f32_e32 v93, v97, v93
	v_fmamk_f32 v97, v19, 0xbf788fa5, v89
	v_fma_f32 v89, 0xbf788fa5, v19, -v89
	v_fma_f32 v79, 0x3f62ad3f, v19, -v79
	v_mul_f32_e32 v117, 0xbeb58ec6, v19
	v_mul_f32_e32 v118, 0xbf6f5d39, v20
	v_add_f32_e32 v19, v98, v95
	v_fmamk_f32 v20, v23, 0x3f116cb1, v81
	v_add_f32_e32 v15, v51, v15
	v_fmamk_f32 v51, v23, 0x3f62ad3f, v91
	v_fma_f32 v91, 0x3f62ad3f, v23, -v91
	v_fma_f32 v81, 0x3f116cb1, v23, -v81
	v_mul_f32_e32 v95, 0xbf3f9e67, v23
	v_fmac_f32_e32 v109, 0x3eedf032, v3
	v_fma_f32 v23, 0x3f62ad3f, v5, -v110
	v_mul_f32_e32 v110, 0xbe750f2a, v22
	v_fma_f32 v22, 0xbf788fa5, v6, -v90
	v_add_f32_e32 v13, v47, v46
	v_mul_f32_e32 v65, 0x3df6dbef, v21
	v_mul_f32_e32 v104, 0x3f116cb1, v21
	v_add_f32_e32 v73, v73, v115
	v_add_f32_e32 v84, v113, v84
	v_mul_f32_e32 v113, 0x3f62ad3f, v21
	v_add_f32_e32 v47, v49, v47
	v_add_f32_e32 v49, v109, v103
	v_fmamk_f32 v103, v21, 0xbf3f9e67, v82
	v_add_f32_e32 v23, v23, v105
	v_fmamk_f32 v105, v21, 0xbeb58ec6, v92
	v_fma_f32 v92, 0xbeb58ec6, v21, -v92
	v_fma_f32 v82, 0xbf3f9e67, v21, -v82
	v_mul_f32_e32 v109, 0xbf788fa5, v21
	v_add_f32_e32 v21, v114, v56
	v_fmamk_f32 v56, v2, 0xbf52af12, v99
	v_add_f32_e32 v22, v22, v71
	v_fmamk_f32 v71, v2, 0x3f7e222b, v111
	;; [unrolled: 2-line block ×3, first 2 shown]
	v_mul_f32_e32 v115, 0x3f7e222b, v48
	v_add_f32_e32 v55, v97, v55
	v_add_f32_e32 v53, v56, v53
	;; [unrolled: 1-line block ×3, first 2 shown]
	v_fmamk_f32 v73, v6, 0xbeb58ec6, v118
	v_fma_f32 v97, 0x3f116cb1, v6, -v100
	v_add_f32_e32 v58, v89, v58
	v_fmamk_f32 v89, v10, 0x3f6f5d39, v101
	v_mul_f32_e32 v68, 0xbf52af12, v48
	v_mul_f32_e32 v70, 0x3eedf032, v48
	;; [unrolled: 1-line block ×5, first 2 shown]
	v_fma_f32 v48, 0x3f62ad3f, v6, -v80
	v_fmamk_f32 v56, v6, 0x3df6dbef, v112
	v_add_f32_e32 v57, v79, v57
	v_add_f32_e32 v73, v73, v76
	v_fmamk_f32 v76, v11, 0xbf7e222b, v65
	v_add_f32_e32 v19, v97, v19
	v_fmamk_f32 v97, v10, 0xbe750f2a, v86
	v_add_f32_e32 v20, v20, v21
	v_fmamk_f32 v21, v12, 0x3df6dbef, v115
	v_add_f32_e32 v53, v89, v53
	v_add_f32_e32 v48, v48, v75
	;; [unrolled: 1-line block ×3, first 2 shown]
	v_fma_f32 v87, 0x3f116cb1, v12, -v68
	v_add_f32_e32 v14, v15, v14
	v_add_f32_e32 v46, v47, v46
	v_fmamk_f32 v47, v11, 0xbf52af12, v104
	v_add_f32_e32 v71, v97, v71
	v_add_f32_e32 v57, v81, v57
	;; [unrolled: 1-line block ×4, first 2 shown]
	v_fma_f32 v53, 0x3f116cb1, v8, -v64
	v_fmamk_f32 v75, v6, 0x3f116cb1, v100
	v_fmac_f32_e32 v90, 0xbf788fa5, v6
	v_fmac_f32_e32 v80, 0x3f62ad3f, v6
	v_fma_f32 v79, 0xbf3f9e67, v13, -v66
	v_fmac_f32_e32 v111, 0xbf7e222b, v2
	v_fmamk_f32 v15, v12, 0xbf788fa5, v50
	v_add_f32_e32 v48, v87, v48
	v_add_f32_e32 v81, v14, v18
	;; [unrolled: 1-line block ×6, first 2 shown]
	v_fma_f32 v57, 0xbeb58ec6, v7, -v63
	v_add_f32_e32 v69, v75, v69
	v_fmamk_f32 v75, v2, 0xbf29c268, v96
	v_add_f32_e32 v85, v90, v85
	v_fmamk_f32 v90, v2, 0x3f6f5d39, v117
	v_add_f32_e32 v74, v80, v74
	v_fma_f32 v80, 0x3f62ad3f, v12, -v70
	v_fma_f32 v100, 0x3df6dbef, v6, -v112
	v_add_f32_e32 v111, v111, v49
	v_fmamk_f32 v49, v13, 0x3f116cb1, v108
	v_add_f32_e32 v56, v15, v56
	v_add_f32_e32 v14, v79, v48
	;; [unrolled: 1-line block ×4, first 2 shown]
	v_fmac_f32_e32 v61, 0xbeedf032, v9
	v_add_f32_e32 v9, v57, v53
	v_fma_f32 v53, 0xbf788fa5, v5, -v94
	v_fma_f32 v8, 0x3f62ad3f, v8, -v62
	v_add_f32_e32 v75, v75, v84
	v_add_f32_e32 v77, v90, v77
	v_fmamk_f32 v90, v12, 0xbeb58ec6, v102
	v_fmac_f32_e32 v68, 0x3f116cb1, v12
	v_add_f32_e32 v100, v100, v23
	v_fmamk_f32 v23, v10, 0xbf7e222b, v88
	v_add_f32_e32 v51, v51, v55
	v_add_f32_e32 v22, v80, v22
	v_fmamk_f32 v80, v10, 0x3f29c268, v95
	v_fma_f32 v102, 0xbeb58ec6, v12, -v102
	v_add_f32_e32 v44, v49, v56
	v_add_f32_e32 v49, v17, v16
	;; [unrolled: 1-line block ×4, first 2 shown]
	v_fmac_f32_e32 v60, 0xbf52af12, v4
	v_add_f32_e32 v4, v53, v9
	v_fma_f32 v9, 0xbf3f9e67, v6, -v106
	v_add_f32_e32 v0, v0, v8
	v_fma_f32 v7, 0x3f116cb1, v7, -v59
	v_fmac_f32_e32 v116, 0xbe750f2a, v3
	v_add_f32_e32 v68, v68, v74
	v_add_f32_e32 v74, v23, v75
	;; [unrolled: 1-line block ×8, first 2 shown]
	v_fmac_f32_e32 v52, 0xbf7e222b, v3
	v_add_f32_e32 v3, v9, v4
	v_fma_f32 v4, 0x3df6dbef, v12, -v115
	v_add_f32_e32 v0, v7, v0
	v_fma_f32 v5, 0x3df6dbef, v5, -v54
	v_fmac_f32_e32 v99, 0x3f52af12, v2
	v_fmamk_f32 v89, v12, 0xbf3f9e67, v98
	v_fmac_f32_e32 v86, 0x3e750f2a, v10
	v_add_f32_e32 v38, v38, v37
	v_add_f32_e32 v37, v51, v41
	;; [unrolled: 1-line block ×3, first 2 shown]
	v_fmac_f32_e32 v96, 0x3f29c268, v2
	v_add_f32_e32 v1, v52, v1
	v_fmac_f32_e32 v117, 0xbf6f5d39, v2
	v_add_f32_e32 v2, v4, v3
	v_add_f32_e32 v0, v5, v0
	v_fma_f32 v4, 0xbeb58ec6, v6, -v118
	v_mov_b32_e32 v5, 0x4e0
	v_mov_b32_e32 v6, 3
	v_fmac_f32_e32 v70, 0x3f62ad3f, v12
	v_add_f32_e32 v93, v99, v93
	v_fmac_f32_e32 v101, 0xbf6f5d39, v10
	v_fmamk_f32 v55, v13, 0x3f62ad3f, v78
	v_fma_f32 v50, 0xbf788fa5, v12, -v50
	v_add_f32_e32 v69, v90, v69
	v_fmamk_f32 v90, v11, 0x3e750f2a, v109
	v_add_f32_e32 v83, v91, v83
	v_fmamk_f32 v91, v13, 0xbf788fa5, v110
	v_add_f32_e32 v73, v89, v73
	v_add_f32_e32 v41, v86, v111
	v_fmac_f32_e32 v104, 0x3f52af12, v11
	v_add_f32_e32 v56, v96, v51
	v_fmac_f32_e32 v88, 0x3f7e222b, v10
	;; [unrolled: 2-line block ×3, first 2 shown]
	v_add_f32_e32 v0, v4, v0
	v_fma_f32 v4, 0xbf3f9e67, v12, -v98
	v_mul_u32_u24_sdwa v5, v31, v5 dst_sel:DWORD dst_unused:UNUSED_PAD src0_sel:WORD_0 src1_sel:DWORD
	v_lshlrev_b32_sdwa v6, v6, v40 dst_sel:DWORD dst_unused:UNUSED_PAD src0_sel:DWORD src1_sel:BYTE_0
	v_fmac_f32_e32 v66, 0xbf3f9e67, v13
	v_fmamk_f32 v87, v11, 0xbeedf032, v113
	v_fma_f32 v84, 0xbeb58ec6, v13, -v67
	v_fmac_f32_e32 v67, 0xbeb58ec6, v13
	v_add_f32_e32 v70, v70, v85
	v_fmamk_f32 v99, v13, 0x3df6dbef, v72
	v_fmac_f32_e32 v65, 0x3f7e222b, v11
	v_fma_f32 v72, 0x3df6dbef, v13, -v72
	v_add_f32_e32 v77, v101, v93
	v_add_f32_e32 v16, v55, v58
	;; [unrolled: 1-line block ×3, first 2 shown]
	v_fma_f32 v55, 0x3f116cb1, v13, -v108
	v_add_f32_e32 v43, v90, v75
	v_add_f32_e32 v42, v91, v73
	;; [unrolled: 1-line block ×4, first 2 shown]
	v_fmac_f32_e32 v113, 0x3eedf032, v11
	v_fma_f32 v3, 0x3f62ad3f, v13, -v78
	v_add_f32_e32 v7, v95, v1
	v_fmac_f32_e32 v109, 0xbe750f2a, v11
	v_add_f32_e32 v4, v4, v0
	v_fma_f32 v8, 0xbf788fa5, v13, -v110
	v_add3_u32 v5, 0, v5, v6
	v_add_f32_e32 v46, v66, v68
	v_add_f32_e32 v17, v87, v74
	;; [unrolled: 1-line block ×14, first 2 shown]
	ds_write2_b64 v5, v[37:38], v[42:43] offset1:12
	ds_write2_b64 v5, v[16:17], v[46:47] offset0:24 offset1:36
	ds_write2_b64 v5, v[44:45], v[22:23] offset0:48 offset1:60
	;; [unrolled: 1-line block ×5, first 2 shown]
	ds_write_b64 v5, v[2:3] offset:1152
.LBB0_23:
	s_or_b32 exec_lo, exec_lo, s1
	v_subrev_nc_u32_e32 v0, 39, v26
	v_cmp_gt_u32_e64 s0, 39, v26
	v_mov_b32_e32 v31, 0
	v_lshrrev_b16 v2, 2, v33
	v_mov_b32_e32 v3, 0xd21
	v_lshrrev_b16 v4, 2, v27
	v_cndmask_b32_e64 v23, v0, v35, s0
	v_lshlrev_b64 v[0:1], 3, v[30:31]
	s_waitcnt lgkmcnt(0)
	v_mul_u32_u24_sdwa v2, v2, v3 dst_sel:DWORD dst_unused:UNUSED_PAD src0_sel:WORD_0 src1_sel:DWORD
	v_mul_u32_u24_sdwa v3, v4, v3 dst_sel:DWORD dst_unused:UNUSED_PAD src0_sel:WORD_0 src1_sel:DWORD
	v_lshlrev_b32_e32 v30, 1, v23
	s_barrier
	v_add_co_u32 v21, s0, s12, v0
	v_add_co_ci_u32_e64 v22, s0, s13, v1, s0
	v_lshlrev_b64 v[0:1], 3, v[30:31]
	v_lshrrev_b32_e32 v30, 17, v2
	buffer_gl0_inv
	global_load_dwordx4 v[5:8], v[21:22], off offset:1232
	v_mov_b32_e32 v35, v31
	v_add_nc_u32_e32 v4, 0x400, v39
	v_add_co_u32 v0, s0, s12, v0
	v_add_co_ci_u32_e64 v1, s0, s13, v1, s0
	v_mul_lo_u16 v2, 0x9c, v30
	v_cmp_lt_u32_e64 s0, 38, v26
	ds_read2_b64 v[40:43], v39 offset1:117
	global_load_dwordx4 v[9:12], v[0:1], off offset:1232
	v_mov_b32_e32 v0, 4
	v_sub_nc_u16 v38, v33, v2
	v_lshrrev_b32_e32 v1, 17, v3
	v_add_nc_u32_e32 v2, 0xc00, v39
	v_add_nc_u32_e32 v3, 0x1c00, v39
	v_mov_b32_e32 v33, v31
	v_lshlrev_b32_sdwa v0, v0, v38 dst_sel:DWORD dst_unused:UNUSED_PAD src0_sel:DWORD src1_sel:WORD_0
	v_mul_lo_u16 v1, 0x9c, v1
	v_lshlrev_b64 v[34:35], 3, v[34:35]
	v_mov_b32_e32 v37, v31
	v_cndmask_b32_e64 v64, 0, 0xea0, s0
	global_load_dwordx4 v[13:16], v0, s[12:13] offset:1232
	v_sub_nc_u16 v0, v27, v1
	v_add_nc_u32_e32 v1, 0x1400, v39
	v_lshlrev_b64 v[32:33], 3, v[32:33]
	v_add_co_u32 v21, s0, 0x800, v21
	v_and_b32_e32 v27, 0xffff, v0
	v_lshlrev_b32_e32 v23, 3, v23
	v_add_co_ci_u32_e64 v22, s0, 0, v22, s0
	v_lshlrev_b64 v[36:37], 3, v[36:37]
	v_lshlrev_b32_e32 v0, 4, v27
	v_add_co_u32 v34, s0, s12, v34
	v_add_co_ci_u32_e64 v35, s0, s13, v35, s0
	global_load_dwordx4 v[17:20], v0, s[12:13] offset:1232
	ds_read2_b64 v[44:47], v2 offset0:84 offset1:201
	ds_read2_b64 v[48:51], v3 offset0:40 offset1:157
	;; [unrolled: 1-line block ×4, first 2 shown]
	v_add_nc_u32_e32 v0, 0x2400, v39
	v_add3_u32 v23, 0, v64, v23
	v_add_co_u32 v64, s0, s12, v32
	v_add_co_ci_u32_e64 v66, s0, s13, v33, s0
	ds_read2_b64 v[60:63], v0 offset0:18 offset1:135
	v_add_co_u32 v36, s0, s12, v36
	v_add_co_ci_u32_e64 v37, s0, s13, v37, s0
	v_add_co_u32 v32, s0, 0x800, v34
	v_add_co_ci_u32_e64 v33, s0, 0, v35, s0
	v_mov_b32_e32 v65, 3
	s_waitcnt vmcnt(0) lgkmcnt(0)
	s_barrier
	buffer_gl0_inv
	v_mul_u32_u24_e32 v30, 0xea0, v30
	v_lshlrev_b32_sdwa v38, v65, v38 dst_sel:DWORD dst_unused:UNUSED_PAD src0_sel:DWORD src1_sel:WORD_0
	v_lshl_add_u32 v27, v27, 3, 0
	v_add3_u32 v30, 0, v30, v38
	v_add_nc_u32_e32 v38, 0x1c00, v27
	v_mul_f32_e32 v34, v6, v45
	v_mul_f32_e32 v6, v6, v44
	;; [unrolled: 1-line block ×4, first 2 shown]
	v_fmac_f32_e32 v34, v5, v44
	v_fma_f32 v5, v5, v45, -v6
	v_fmac_f32_e32 v35, v7, v48
	v_fma_f32 v6, v7, v49, -v8
	v_mul_f32_e32 v44, v10, v47
	v_mul_f32_e32 v7, v10, v46
	;; [unrolled: 1-line block ×4, first 2 shown]
	v_add_f32_e32 v12, v34, v35
	v_add_f32_e32 v65, v5, v6
	;; [unrolled: 1-line block ×3, first 2 shown]
	v_sub_f32_e32 v48, v5, v6
	v_add_f32_e32 v49, v41, v5
	v_sub_f32_e32 v34, v34, v35
	v_fmac_f32_e32 v44, v9, v46
	v_fma_f32 v46, v9, v47, -v7
	v_mul_f32_e32 v67, v14, v57
	v_mul_f32_e32 v14, v14, v56
	;; [unrolled: 1-line block ×4, first 2 shown]
	v_fmac_f32_e32 v45, v11, v50
	v_fma_f32 v47, v11, v51, -v8
	v_fma_f32 v7, -0.5, v12, v40
	v_fma_f32 v8, -0.5, v65, v41
	v_fmac_f32_e32 v67, v13, v56
	v_fma_f32 v11, v13, v57, -v14
	v_fmac_f32_e32 v68, v60, v15
	v_fma_f32 v13, v61, v15, -v16
	v_add_f32_e32 v5, v10, v35
	v_add_f32_e32 v6, v49, v6
	v_fmamk_f32 v9, v48, 0xbf5db3d7, v7
	v_fmamk_f32 v10, v34, 0x3f5db3d7, v8
	v_mul_f32_e32 v14, v59, v18
	v_mul_f32_e32 v12, v58, v18
	;; [unrolled: 1-line block ×4, first 2 shown]
	v_add_f32_e32 v20, v44, v45
	v_add_f32_e32 v35, v43, v46
	;; [unrolled: 1-line block ×3, first 2 shown]
	v_fmac_f32_e32 v14, v58, v17
	v_fma_f32 v17, v59, v17, -v12
	v_fmac_f32_e32 v15, v62, v19
	v_fma_f32 v16, v63, v19, -v16
	v_add_f32_e32 v19, v52, v67
	v_fmac_f32_e32 v7, 0x3f5db3d7, v48
	v_fmac_f32_e32 v8, 0xbf5db3d7, v34
	v_add_f32_e32 v18, v42, v44
	v_sub_f32_e32 v41, v44, v45
	v_add_f32_e32 v44, v67, v68
	v_add_f32_e32 v49, v11, v13
	v_sub_f32_e32 v34, v46, v47
	v_fma_f32 v42, -0.5, v20, v42
	v_add_f32_e32 v12, v35, v47
	v_fmac_f32_e32 v43, -0.5, v40
	ds_write2_b64 v39, v[5:6], v[9:10] offset1:156
	ds_write_b64 v39, v[7:8] offset:2496
	v_add_f32_e32 v5, v19, v68
	v_add_f32_e32 v19, v14, v15
	v_sub_f32_e32 v20, v17, v16
	v_add_f32_e32 v35, v55, v17
	v_add_f32_e32 v17, v17, v16
	v_sub_f32_e32 v46, v11, v13
	v_add_f32_e32 v48, v53, v11
	v_sub_f32_e32 v50, v67, v68
	v_fma_f32 v7, -0.5, v44, v52
	v_fma_f32 v8, -0.5, v49, v53
	v_add_f32_e32 v11, v18, v45
	v_add_f32_e32 v18, v54, v14
	v_sub_f32_e32 v40, v14, v15
	v_fmamk_f32 v9, v34, 0xbf5db3d7, v42
	v_fmamk_f32 v10, v41, 0x3f5db3d7, v43
	v_fma_f32 v54, -0.5, v19, v54
	v_fmac_f32_e32 v55, -0.5, v17
	v_fmac_f32_e32 v42, 0x3f5db3d7, v34
	v_fmac_f32_e32 v43, 0xbf5db3d7, v41
	v_add_f32_e32 v6, v48, v13
	v_fmamk_f32 v13, v46, 0xbf5db3d7, v7
	v_fmamk_f32 v14, v50, 0x3f5db3d7, v8
	v_fmac_f32_e32 v7, 0x3f5db3d7, v46
	v_fmac_f32_e32 v8, 0xbf5db3d7, v50
	v_add_f32_e32 v15, v18, v15
	v_add_f32_e32 v16, v35, v16
	ds_write2_b64 v23, v[11:12], v[9:10] offset1:156
	v_fmamk_f32 v9, v20, 0xbf5db3d7, v54
	v_fmamk_f32 v10, v40, 0x3f5db3d7, v55
	v_fmac_f32_e32 v54, 0x3f5db3d7, v20
	v_fmac_f32_e32 v55, 0xbf5db3d7, v40
	ds_write_b64 v23, v[42:43] offset:2496
	ds_write2_b64 v30, v[5:6], v[13:14] offset1:156
	ds_write_b64 v30, v[7:8] offset:2496
	ds_write2_b64 v38, v[15:16], v[9:10] offset0:40 offset1:196
	ds_write_b64 v27, v[54:55] offset:9984
	v_add_co_u32 v13, s0, 0x800, v64
	v_add_co_ci_u32_e64 v14, s0, 0, v66, s0
	v_add_co_u32 v17, s0, 0x800, v36
	v_add_co_ci_u32_e64 v18, s0, 0, v37, s0
	s_waitcnt lgkmcnt(0)
	s_barrier
	buffer_gl0_inv
	s_clause 0x3
	global_load_dwordx4 v[5:8], v[21:22], off offset:1680
	global_load_dwordx4 v[9:12], v[32:33], off offset:1680
	global_load_dwordx4 v[13:16], v[13:14], off offset:1680
	global_load_dwordx4 v[17:20], v[17:18], off offset:1680
	ds_read2_b64 v[32:35], v2 offset0:84 offset1:201
	ds_read2_b64 v[40:43], v3 offset0:40 offset1:157
	;; [unrolled: 1-line block ×4, first 2 shown]
	ds_read2_b64 v[52:55], v39 offset1:117
	ds_read2_b64 v[56:59], v4 offset0:106 offset1:223
	s_waitcnt vmcnt(0) lgkmcnt(0)
	s_barrier
	buffer_gl0_inv
	v_mul_f32_e32 v21, v6, v33
	v_mul_f32_e32 v6, v6, v32
	;; [unrolled: 1-line block ×16, first 2 shown]
	v_fmac_f32_e32 v21, v5, v32
	v_fma_f32 v5, v5, v33, -v6
	v_fmac_f32_e32 v22, v7, v40
	v_fma_f32 v6, v7, v41, -v8
	;; [unrolled: 2-line block ×8, first 2 shown]
	v_add_f32_e32 v13, v21, v22
	v_add_f32_e32 v15, v5, v6
	;; [unrolled: 1-line block ×16, first 2 shown]
	v_sub_f32_e32 v18, v5, v6
	v_sub_f32_e32 v19, v21, v22
	;; [unrolled: 1-line block ×5, first 2 shown]
	v_fma_f32 v7, -0.5, v13, v52
	v_fma_f32 v8, -0.5, v15, v53
	;; [unrolled: 1-line block ×3, first 2 shown]
	v_fmac_f32_e32 v55, -0.5, v33
	v_sub_f32_e32 v30, v30, v36
	v_sub_f32_e32 v45, v9, v16
	;; [unrolled: 1-line block ×3, first 2 shown]
	v_add_f32_e32 v6, v14, v6
	v_fma_f32 v13, -0.5, v35, v56
	v_fma_f32 v14, -0.5, v42, v57
	;; [unrolled: 1-line block ×3, first 2 shown]
	v_fmac_f32_e32 v59, -0.5, v47
	v_add_f32_e32 v5, v11, v22
	v_add_f32_e32 v9, v17, v27
	;; [unrolled: 1-line block ×7, first 2 shown]
	v_fmamk_f32 v17, v18, 0xbf5db3d7, v7
	v_fmac_f32_e32 v7, 0x3f5db3d7, v18
	v_fmamk_f32 v18, v19, 0x3f5db3d7, v8
	v_fmac_f32_e32 v8, 0xbf5db3d7, v19
	v_fmamk_f32 v19, v21, 0xbf5db3d7, v54
	v_fmamk_f32 v20, v23, 0x3f5db3d7, v55
	v_fmac_f32_e32 v54, 0x3f5db3d7, v21
	v_fmac_f32_e32 v55, 0xbf5db3d7, v23
	v_fmamk_f32 v21, v40, 0xbf5db3d7, v13
	v_fmamk_f32 v22, v30, 0x3f5db3d7, v14
	;; [unrolled: 1-line block ×4, first 2 shown]
	v_fmac_f32_e32 v13, 0x3f5db3d7, v40
	v_fmac_f32_e32 v14, 0xbf5db3d7, v30
	;; [unrolled: 1-line block ×4, first 2 shown]
	ds_write2_b64 v39, v[5:6], v[9:10] offset1:117
	ds_write2_b64 v4, v[11:12], v[15:16] offset0:106 offset1:223
	ds_write2_b64 v2, v[17:18], v[19:20] offset0:84 offset1:201
	ds_write2_b64 v3, v[7:8], v[54:55] offset0:40 offset1:157
	ds_write2_b64 v1, v[21:22], v[32:33] offset0:62 offset1:179
	ds_write2_b64 v0, v[13:14], v[58:59] offset0:18 offset1:135
	s_waitcnt lgkmcnt(0)
	s_barrier
	buffer_gl0_inv
	s_and_saveexec_b32 s0, vcc_lo
	s_cbranch_execz .LBB0_25
; %bb.24:
	v_mul_lo_u32 v2, s3, v28
	v_mul_lo_u32 v3, s2, v29
	v_mad_u64_u32 v[0:1], null, s2, v28, 0
	v_lshl_add_u32 v16, v26, 3, 0
	v_mov_b32_e32 v27, v31
	v_lshlrev_b64 v[6:7], 3, v[24:25]
	v_add_nc_u32_e32 v30, 0x75, v26
	v_add3_u32 v1, v1, v3, v2
	v_lshlrev_b64 v[8:9], 3, v[26:27]
	v_lshlrev_b64 v[10:11], 3, v[30:31]
	v_add_nc_u32_e32 v30, 0xea, v26
	v_lshlrev_b64 v[4:5], 3, v[0:1]
	ds_read2_b64 v[0:3], v16 offset1:117
	v_lshlrev_b64 v[12:13], 3, v[30:31]
	v_add_nc_u32_e32 v30, 0x15f, v26
	v_add_co_u32 v4, vcc_lo, s10, v4
	v_add_co_ci_u32_e32 v5, vcc_lo, s11, v5, vcc_lo
	v_add_co_u32 v20, vcc_lo, v4, v6
	v_add_nc_u32_e32 v4, 0x400, v16
	v_add_co_ci_u32_e32 v21, vcc_lo, v5, v7, vcc_lo
	v_add_co_u32 v8, vcc_lo, v20, v8
	ds_read2_b64 v[4:7], v4 offset0:106 offset1:223
	v_add_co_ci_u32_e32 v9, vcc_lo, v21, v9, vcc_lo
	v_add_co_u32 v10, vcc_lo, v20, v10
	v_add_co_ci_u32_e32 v11, vcc_lo, v21, v11, vcc_lo
	s_waitcnt lgkmcnt(1)
	global_store_dwordx2 v[8:9], v[0:1], off
	global_store_dwordx2 v[10:11], v[2:3], off
	v_lshlrev_b64 v[0:1], 3, v[30:31]
	v_add_co_u32 v2, vcc_lo, v20, v12
	v_add_co_ci_u32_e32 v3, vcc_lo, v21, v13, vcc_lo
	v_add_nc_u32_e32 v30, 0x1d4, v26
	v_add_co_u32 v0, vcc_lo, v20, v0
	v_add_co_ci_u32_e32 v1, vcc_lo, v21, v1, vcc_lo
	v_add_nc_u32_e32 v10, 0xc00, v16
	v_add_nc_u32_e32 v12, 0x1400, v16
	v_lshlrev_b64 v[8:9], 3, v[30:31]
	v_add_nc_u32_e32 v30, 0x249, v26
	s_waitcnt lgkmcnt(0)
	global_store_dwordx2 v[2:3], v[4:5], off
	global_store_dwordx2 v[0:1], v[6:7], off
	ds_read2_b64 v[0:3], v10 offset0:84 offset1:201
	ds_read2_b64 v[4:7], v12 offset0:62 offset1:179
	v_lshlrev_b64 v[10:11], 3, v[30:31]
	v_add_nc_u32_e32 v30, 0x2be, v26
	v_add_co_u32 v8, vcc_lo, v20, v8
	v_add_co_ci_u32_e32 v9, vcc_lo, v21, v9, vcc_lo
	v_lshlrev_b64 v[12:13], 3, v[30:31]
	v_add_nc_u32_e32 v30, 0x333, v26
	v_add_co_u32 v10, vcc_lo, v20, v10
	v_add_co_ci_u32_e32 v11, vcc_lo, v21, v11, vcc_lo
	v_add_co_u32 v12, vcc_lo, v20, v12
	v_lshlrev_b64 v[14:15], 3, v[30:31]
	v_add_nc_u32_e32 v30, 0x3a8, v26
	v_add_co_ci_u32_e32 v13, vcc_lo, v21, v13, vcc_lo
	s_waitcnt lgkmcnt(1)
	global_store_dwordx2 v[8:9], v[0:1], off
	global_store_dwordx2 v[10:11], v[2:3], off
	s_waitcnt lgkmcnt(0)
	global_store_dwordx2 v[12:13], v[4:5], off
	v_add_nc_u32_e32 v0, 0x1c00, v16
	v_lshlrev_b64 v[4:5], 3, v[30:31]
	v_add_nc_u32_e32 v30, 0x41d, v26
	v_add_nc_u32_e32 v8, 0x2400, v16
	v_add_co_u32 v12, vcc_lo, v20, v14
	v_add_co_ci_u32_e32 v13, vcc_lo, v21, v15, vcc_lo
	ds_read2_b64 v[0:3], v0 offset0:40 offset1:157
	v_lshlrev_b64 v[14:15], 3, v[30:31]
	v_add_nc_u32_e32 v30, 0x492, v26
	ds_read2_b64 v[8:11], v8 offset0:18 offset1:135
	v_add_co_u32 v4, vcc_lo, v20, v4
	v_add_co_ci_u32_e32 v5, vcc_lo, v21, v5, vcc_lo
	v_lshlrev_b64 v[16:17], 3, v[30:31]
	v_add_nc_u32_e32 v30, 0x507, v26
	v_add_co_u32 v14, vcc_lo, v20, v14
	v_add_co_ci_u32_e32 v15, vcc_lo, v21, v15, vcc_lo
	v_lshlrev_b64 v[18:19], 3, v[30:31]
	v_add_co_u32 v16, vcc_lo, v20, v16
	v_add_co_ci_u32_e32 v17, vcc_lo, v21, v17, vcc_lo
	v_add_co_u32 v18, vcc_lo, v20, v18
	v_add_co_ci_u32_e32 v19, vcc_lo, v21, v19, vcc_lo
	global_store_dwordx2 v[12:13], v[6:7], off
	s_waitcnt lgkmcnt(1)
	global_store_dwordx2 v[4:5], v[0:1], off
	global_store_dwordx2 v[14:15], v[2:3], off
	s_waitcnt lgkmcnt(0)
	global_store_dwordx2 v[16:17], v[8:9], off
	global_store_dwordx2 v[18:19], v[10:11], off
.LBB0_25:
	s_endpgm
	.section	.rodata,"a",@progbits
	.p2align	6, 0x0
	.amdhsa_kernel fft_rtc_back_len1404_factors_2_2_3_13_3_3_wgs_117_tpt_117_halfLds_sp_op_CI_CI_unitstride_sbrr_C2R_dirReg
		.amdhsa_group_segment_fixed_size 0
		.amdhsa_private_segment_fixed_size 0
		.amdhsa_kernarg_size 104
		.amdhsa_user_sgpr_count 6
		.amdhsa_user_sgpr_private_segment_buffer 1
		.amdhsa_user_sgpr_dispatch_ptr 0
		.amdhsa_user_sgpr_queue_ptr 0
		.amdhsa_user_sgpr_kernarg_segment_ptr 1
		.amdhsa_user_sgpr_dispatch_id 0
		.amdhsa_user_sgpr_flat_scratch_init 0
		.amdhsa_user_sgpr_private_segment_size 0
		.amdhsa_wavefront_size32 1
		.amdhsa_uses_dynamic_stack 0
		.amdhsa_system_sgpr_private_segment_wavefront_offset 0
		.amdhsa_system_sgpr_workgroup_id_x 1
		.amdhsa_system_sgpr_workgroup_id_y 0
		.amdhsa_system_sgpr_workgroup_id_z 0
		.amdhsa_system_sgpr_workgroup_info 0
		.amdhsa_system_vgpr_workitem_id 0
		.amdhsa_next_free_vgpr 119
		.amdhsa_next_free_sgpr 27
		.amdhsa_reserve_vcc 1
		.amdhsa_reserve_flat_scratch 0
		.amdhsa_float_round_mode_32 0
		.amdhsa_float_round_mode_16_64 0
		.amdhsa_float_denorm_mode_32 3
		.amdhsa_float_denorm_mode_16_64 3
		.amdhsa_dx10_clamp 1
		.amdhsa_ieee_mode 1
		.amdhsa_fp16_overflow 0
		.amdhsa_workgroup_processor_mode 1
		.amdhsa_memory_ordered 1
		.amdhsa_forward_progress 0
		.amdhsa_shared_vgpr_count 0
		.amdhsa_exception_fp_ieee_invalid_op 0
		.amdhsa_exception_fp_denorm_src 0
		.amdhsa_exception_fp_ieee_div_zero 0
		.amdhsa_exception_fp_ieee_overflow 0
		.amdhsa_exception_fp_ieee_underflow 0
		.amdhsa_exception_fp_ieee_inexact 0
		.amdhsa_exception_int_div_zero 0
	.end_amdhsa_kernel
	.text
.Lfunc_end0:
	.size	fft_rtc_back_len1404_factors_2_2_3_13_3_3_wgs_117_tpt_117_halfLds_sp_op_CI_CI_unitstride_sbrr_C2R_dirReg, .Lfunc_end0-fft_rtc_back_len1404_factors_2_2_3_13_3_3_wgs_117_tpt_117_halfLds_sp_op_CI_CI_unitstride_sbrr_C2R_dirReg
                                        ; -- End function
	.section	.AMDGPU.csdata,"",@progbits
; Kernel info:
; codeLenInByte = 10156
; NumSgprs: 29
; NumVgprs: 119
; ScratchSize: 0
; MemoryBound: 0
; FloatMode: 240
; IeeeMode: 1
; LDSByteSize: 0 bytes/workgroup (compile time only)
; SGPRBlocks: 3
; VGPRBlocks: 14
; NumSGPRsForWavesPerEU: 29
; NumVGPRsForWavesPerEU: 119
; Occupancy: 8
; WaveLimiterHint : 1
; COMPUTE_PGM_RSRC2:SCRATCH_EN: 0
; COMPUTE_PGM_RSRC2:USER_SGPR: 6
; COMPUTE_PGM_RSRC2:TRAP_HANDLER: 0
; COMPUTE_PGM_RSRC2:TGID_X_EN: 1
; COMPUTE_PGM_RSRC2:TGID_Y_EN: 0
; COMPUTE_PGM_RSRC2:TGID_Z_EN: 0
; COMPUTE_PGM_RSRC2:TIDIG_COMP_CNT: 0
	.text
	.p2alignl 6, 3214868480
	.fill 48, 4, 3214868480
	.type	__hip_cuid_e41bd2a273f53dee,@object ; @__hip_cuid_e41bd2a273f53dee
	.section	.bss,"aw",@nobits
	.globl	__hip_cuid_e41bd2a273f53dee
__hip_cuid_e41bd2a273f53dee:
	.byte	0                               ; 0x0
	.size	__hip_cuid_e41bd2a273f53dee, 1

	.ident	"AMD clang version 19.0.0git (https://github.com/RadeonOpenCompute/llvm-project roc-6.4.0 25133 c7fe45cf4b819c5991fe208aaa96edf142730f1d)"
	.section	".note.GNU-stack","",@progbits
	.addrsig
	.addrsig_sym __hip_cuid_e41bd2a273f53dee
	.amdgpu_metadata
---
amdhsa.kernels:
  - .args:
      - .actual_access:  read_only
        .address_space:  global
        .offset:         0
        .size:           8
        .value_kind:     global_buffer
      - .offset:         8
        .size:           8
        .value_kind:     by_value
      - .actual_access:  read_only
        .address_space:  global
        .offset:         16
        .size:           8
        .value_kind:     global_buffer
      - .actual_access:  read_only
        .address_space:  global
        .offset:         24
        .size:           8
        .value_kind:     global_buffer
      - .actual_access:  read_only
        .address_space:  global
        .offset:         32
        .size:           8
        .value_kind:     global_buffer
      - .offset:         40
        .size:           8
        .value_kind:     by_value
      - .actual_access:  read_only
        .address_space:  global
        .offset:         48
        .size:           8
        .value_kind:     global_buffer
      - .actual_access:  read_only
        .address_space:  global
        .offset:         56
        .size:           8
        .value_kind:     global_buffer
      - .offset:         64
        .size:           4
        .value_kind:     by_value
      - .actual_access:  read_only
        .address_space:  global
        .offset:         72
        .size:           8
        .value_kind:     global_buffer
      - .actual_access:  read_only
        .address_space:  global
        .offset:         80
        .size:           8
        .value_kind:     global_buffer
      - .actual_access:  read_only
        .address_space:  global
        .offset:         88
        .size:           8
        .value_kind:     global_buffer
      - .actual_access:  write_only
        .address_space:  global
        .offset:         96
        .size:           8
        .value_kind:     global_buffer
    .group_segment_fixed_size: 0
    .kernarg_segment_align: 8
    .kernarg_segment_size: 104
    .language:       OpenCL C
    .language_version:
      - 2
      - 0
    .max_flat_workgroup_size: 117
    .name:           fft_rtc_back_len1404_factors_2_2_3_13_3_3_wgs_117_tpt_117_halfLds_sp_op_CI_CI_unitstride_sbrr_C2R_dirReg
    .private_segment_fixed_size: 0
    .sgpr_count:     29
    .sgpr_spill_count: 0
    .symbol:         fft_rtc_back_len1404_factors_2_2_3_13_3_3_wgs_117_tpt_117_halfLds_sp_op_CI_CI_unitstride_sbrr_C2R_dirReg.kd
    .uniform_work_group_size: 1
    .uses_dynamic_stack: false
    .vgpr_count:     119
    .vgpr_spill_count: 0
    .wavefront_size: 32
    .workgroup_processor_mode: 1
amdhsa.target:   amdgcn-amd-amdhsa--gfx1030
amdhsa.version:
  - 1
  - 2
...

	.end_amdgpu_metadata
